;; amdgpu-corpus repo=ROCm/bitsandbytes kind=harvested arch=n/a opt=n/a
	.text
	.amdgcn_target "amdgcn-amd-amdhsa--gfx1100"
	.amdhsa_code_object_version 6
	.protected	_Z26kgemm_4bit_inference_naiveIfLi128ELi32EEviiiPT_PhPfPKfS1_iiii ; -- Begin function _Z26kgemm_4bit_inference_naiveIfLi128ELi32EEviiiPT_PhPfPKfS1_iiii
	.globl	_Z26kgemm_4bit_inference_naiveIfLi128ELi32EEviiiPT_PhPfPKfS1_iiii
	.p2align	8
	.type	_Z26kgemm_4bit_inference_naiveIfLi128ELi32EEviiiPT_PhPfPKfS1_iiii,@function
_Z26kgemm_4bit_inference_naiveIfLi128ELi32EEviiiPT_PhPfPKfS1_iiii: ; @_Z26kgemm_4bit_inference_naiveIfLi128ELi32EEviiiPT_PhPfPKfS1_iiii
; %bb.0:
	s_load_b256 s[4:11], s[0:1], 0x18
	s_mov_b32 s2, exec_lo
	v_cmpx_gt_u32_e32 16, v0
	s_cbranch_execz .LBB30_2
; %bb.1:
	v_lshlrev_b32_e32 v1, 2, v0
	s_waitcnt lgkmcnt(0)
	global_load_b32 v2, v1, s[8:9]
	s_waitcnt vmcnt(0)
	ds_store_b32 v1, v2
.LBB30_2:
	s_or_b32 exec_lo, exec_lo, s2
	s_clause 0x1
	s_load_b32 s12, s[0:1], 0x8
	s_load_b32 s3, s[0:1], 0x0
	v_and_b32_e32 v35, 31, v0
	v_lshrrev_b32_e32 v0, 5, v0
	s_mov_b32 s13, exec_lo
	s_waitcnt lgkmcnt(0)
	s_delay_alu instid0(VALU_DEP_2) | instskip(NEXT) | instid1(VALU_DEP_2)
	v_dual_mov_b32 v37, 0 :: v_dual_lshlrev_b32 v36, 5, v35
	v_lshl_add_u32 v28, s15, 2, v0
	s_barrier
	buffer_gl0_inv
	v_cmpx_gt_i32_e64 s12, v36
	s_cbranch_execz .LBB30_130
; %bb.3:
	s_clause 0x2
	s_load_b32 s2, s[0:1], 0x44
	s_load_b32 s16, s[0:1], 0x3c
	s_load_b64 s[8:9], s[0:1], 0x10
	s_lshr_b32 s14, s12, 1
	v_dual_mov_b32 v37, 0 :: v_dual_lshlrev_b32 v0, 7, v35
	s_add_i32 s15, s14, -16
	v_cmp_gt_i32_e32 vcc_lo, s3, v28
	v_add_nc_u32_e32 v40, 32, v36
	v_lshlrev_b32_e32 v38, 4, v35
	s_mov_b32 s47, 0
	s_waitcnt lgkmcnt(0)
	s_clz_i32_u32 s0, s2
	v_mul_lo_u32 v39, v28, s16
	s_min_u32 s0, s0, 32
	v_add_co_u32 v0, s1, v0, s8
	s_sub_i32 s16, 31, s0
	s_add_u32 s17, s4, 1
	s_addc_u32 s18, s5, 0
	s_add_u32 s19, s4, 2
	s_addc_u32 s20, s5, 0
	;; [unrolled: 2-line block ×10, first 2 shown]
	s_add_u32 s38, s4, 11
	v_add_co_ci_u32_e64 v1, null, 0, s9, s1
	s_addc_u32 s39, s5, 0
	s_add_u32 s40, s4, 12
	s_addc_u32 s41, s5, 0
	v_add_co_u32 v31, s0, 0x7c, v0
	s_add_u32 s42, s4, 13
	s_addc_u32 s43, s5, 0
	v_dual_mov_b32 v30, 0 :: v_dual_lshlrev_b32 v41, 1, v39
	v_add_co_ci_u32_e64 v32, s0, 0, v1, s0
	s_add_u32 s44, s4, 14
	s_addc_u32 s45, s5, 0
	s_add_u32 s46, s4, 15
	s_addc_u32 s48, s5, 0
	s_branch .LBB30_5
.LBB30_4:                               ;   in Loop: Header=BB30_5 Depth=1
	s_or_b32 exec_lo, exec_lo, s0
	s_waitcnt lgkmcnt(31)
	v_dual_mul_f32 v33, v42, v49 :: v_dual_add_nc_u32 v36, 0x400, v36
	s_waitcnt lgkmcnt(30)
	v_mul_f32_e32 v34, v42, v50
	v_add_co_u32 v31, s0, 0x1000, v31
	s_waitcnt vmcnt(0)
	v_fmac_f32_e32 v37, v33, v4
	v_add_co_ci_u32_e64 v32, s0, 0, v32, s0
	s_delay_alu instid0(VALU_DEP_2) | instskip(SKIP_3) | instid1(VALU_DEP_1)
	v_dual_fmac_f32 v37, v34, v5 :: v_dual_add_nc_u32 v38, 0x200, v38
	s_waitcnt lgkmcnt(28)
	v_mul_f32_e32 v5, v42, v47
	v_mul_f32_e32 v4, v42, v48
	v_fmac_f32_e32 v37, v4, v6
	s_delay_alu instid0(VALU_DEP_1) | instskip(SKIP_3) | instid1(VALU_DEP_1)
	v_fmac_f32_e32 v37, v5, v7
	s_waitcnt lgkmcnt(26)
	v_mul_f32_e32 v5, v42, v45
	v_mul_f32_e32 v4, v42, v46
	v_fmac_f32_e32 v37, v4, v16
	s_waitcnt lgkmcnt(25)
	s_delay_alu instid0(VALU_DEP_1) | instskip(SKIP_3) | instid1(VALU_DEP_2)
	v_dual_mul_f32 v4, v42, v44 :: v_dual_fmac_f32 v37, v5, v17
	s_waitcnt lgkmcnt(24)
	v_mul_f32_e32 v5, v42, v43
	s_waitcnt lgkmcnt(23)
	v_dual_fmac_f32 v37, v4, v18 :: v_dual_mul_f32 v4, v42, v59
	s_delay_alu instid0(VALU_DEP_1) | instskip(SKIP_3) | instid1(VALU_DEP_2)
	v_fmac_f32_e32 v37, v5, v51
	s_waitcnt lgkmcnt(22)
	v_mul_f32_e32 v5, v42, v58
	s_waitcnt lgkmcnt(21)
	v_dual_fmac_f32 v37, v4, v8 :: v_dual_mul_f32 v4, v42, v57
	s_delay_alu instid0(VALU_DEP_1) | instskip(SKIP_3) | instid1(VALU_DEP_2)
	v_fmac_f32_e32 v37, v5, v9
	;; [unrolled: 6-line block ×6, first 2 shown]
	s_waitcnt lgkmcnt(12)
	v_mul_f32_e32 v5, v42, v65
	s_waitcnt lgkmcnt(11)
	v_dual_fmac_f32 v37, v4, v14 :: v_dual_mul_f32 v4, v42, v64
	s_delay_alu instid0(VALU_DEP_1) | instskip(SKIP_2) | instid1(VALU_DEP_2)
	v_fmac_f32_e32 v37, v5, v15
	s_waitcnt lgkmcnt(10)
	v_mul_f32_e32 v5, v42, v63
	v_fmac_f32_e32 v37, v4, v22
	s_waitcnt lgkmcnt(9)
	s_delay_alu instid0(VALU_DEP_1) | instskip(SKIP_3) | instid1(VALU_DEP_2)
	v_dual_mul_f32 v4, v42, v62 :: v_dual_fmac_f32 v37, v5, v23
	s_waitcnt lgkmcnt(8)
	v_mul_f32_e32 v5, v42, v61
	s_waitcnt lgkmcnt(7)
	v_dual_fmac_f32 v37, v4, v24 :: v_dual_mul_f32 v4, v42, v77
	s_delay_alu instid0(VALU_DEP_1) | instskip(SKIP_3) | instid1(VALU_DEP_2)
	v_fmac_f32_e32 v37, v5, v69
	s_waitcnt lgkmcnt(6)
	v_mul_f32_e32 v5, v42, v76
	s_waitcnt lgkmcnt(5)
	v_dual_fmac_f32 v37, v4, v0 :: v_dual_mul_f32 v0, v42, v75
	s_delay_alu instid0(VALU_DEP_1) | instskip(SKIP_3) | instid1(VALU_DEP_2)
	v_fmac_f32_e32 v37, v5, v1
	s_waitcnt lgkmcnt(4)
	v_mul_f32_e32 v1, v42, v74
	s_waitcnt lgkmcnt(3)
	v_dual_fmac_f32 v37, v0, v2 :: v_dual_mul_f32 v0, v42, v73
	s_delay_alu instid0(VALU_DEP_1) | instskip(SKIP_2) | instid1(VALU_DEP_2)
	v_dual_fmac_f32 v37, v1, v3 :: v_dual_add_nc_u32 v2, 0x400, v40
	s_waitcnt lgkmcnt(2)
	v_mul_f32_e32 v1, v42, v72
	v_dual_mov_b32 v40, v2 :: v_dual_add_nc_u32 v3, 0x3e0, v40
	s_waitcnt lgkmcnt(1)
	v_dual_fmac_f32 v37, v0, v25 :: v_dual_mul_f32 v0, v42, v71
	s_delay_alu instid0(VALU_DEP_2) | instskip(NEXT) | instid1(VALU_DEP_2)
	v_cmp_le_i32_e64 s0, s12, v3
	v_fmac_f32_e32 v37, v1, v26
	s_waitcnt lgkmcnt(0)
	v_mul_f32_e32 v1, v42, v70
	s_delay_alu instid0(VALU_DEP_3) | instskip(NEXT) | instid1(VALU_DEP_2)
	s_or_b32 s47, s0, s47
	v_fmac_f32_e32 v37, v0, v27
	s_delay_alu instid0(VALU_DEP_1)
	v_fmac_f32_e32 v37, v1, v29
	s_and_not1_b32 exec_lo, exec_lo, s47
	s_cbranch_execz .LBB30_129
.LBB30_5:                               ; =>This Inner Loop Header: Depth=1
	v_add3_u32 v0, v41, v40, 0xffffffe0
	v_dual_mov_b32 v27, 0x77 :: v_dual_mov_b32 v26, 0x77
	v_dual_mov_b32 v25, 0x77 :: v_dual_mov_b32 v12, 0x77
	s_delay_alu instid0(VALU_DEP_3) | instskip(SKIP_2) | instid1(VALU_DEP_3)
	v_ashrrev_i32_e32 v0, s16, v0
	v_dual_mov_b32 v3, 0x77 :: v_dual_mov_b32 v14, 0x77
	v_dual_mov_b32 v15, 0x77 :: v_dual_mov_b32 v2, 0x77
	v_ashrrev_i32_e32 v1, 31, v0
	v_dual_mov_b32 v11, 0x77 :: v_dual_mov_b32 v10, 0x77
	v_dual_mov_b32 v19, 0x77 :: v_dual_mov_b32 v4, 0x77
	s_delay_alu instid0(VALU_DEP_3) | instskip(SKIP_1) | instid1(VALU_DEP_2)
	v_lshlrev_b64 v[0:1], 2, v[0:1]
	v_dual_mov_b32 v7, 0x77 :: v_dual_mov_b32 v8, 0x77
	v_add_co_u32 v0, s0, s6, v0
	s_delay_alu instid0(VALU_DEP_1)
	v_add_co_ci_u32_e64 v1, s0, s7, v1, s0
	global_load_b32 v42, v[0:1], off
	v_dual_mov_b32 v0, 0x77 :: v_dual_mov_b32 v1, 0x77
	s_and_saveexec_b32 s1, vcc_lo
	s_cbranch_execz .LBB30_11
; %bb.6:                                ;   in Loop: Header=BB30_5 Depth=1
	v_add_nc_u32_e32 v9, v39, v38
	s_mov_b32 s49, 0
	s_mov_b32 s2, exec_lo
                                        ; implicit-def: $vgpr0
                                        ; implicit-def: $vgpr7
                                        ; implicit-def: $vgpr8
                                        ; implicit-def: $vgpr4
                                        ; implicit-def: $vgpr10
                                        ; implicit-def: $vgpr19
                                        ; implicit-def: $vgpr11
                                        ; implicit-def: $vgpr14
                                        ; implicit-def: $vgpr15
                                        ; implicit-def: $vgpr12
                                        ; implicit-def: $vgpr25
                                        ; implicit-def: $vgpr26
                                        ; implicit-def: $sgpr50
                                        ; implicit-def: $vgpr5_vgpr6
	s_delay_alu instid0(VALU_DEP_1)
	v_ashrrev_i32_e32 v13, 31, v9
	v_cmpx_le_i32_e64 s15, v38
	s_xor_b32 s2, exec_lo, s2
	s_cbranch_execnz .LBB30_95
; %bb.7:                                ;   in Loop: Header=BB30_5 Depth=1
	s_and_not1_saveexec_b32 s2, s2
	s_cbranch_execnz .LBB30_128
.LBB30_8:                               ;   in Loop: Header=BB30_5 Depth=1
	s_or_b32 exec_lo, exec_lo, s2
	v_mov_b32_e32 v27, s50
	s_and_saveexec_b32 s0, s49
	s_cbranch_execz .LBB30_10
.LBB30_9:                               ;   in Loop: Header=BB30_5 Depth=1
	global_load_u8 v27, v[5:6], off
.LBB30_10:                              ;   in Loop: Header=BB30_5 Depth=1
	s_or_b32 exec_lo, exec_lo, s0
.LBB30_11:                              ;   in Loop: Header=BB30_5 Depth=1
	s_delay_alu instid0(SALU_CYCLE_1)
	s_or_b32 exec_lo, exec_lo, s1
	s_waitcnt vmcnt(0)
	v_lshrrev_b16 v5, 4, v0
	v_lshrrev_b16 v6, 4, v7
	;; [unrolled: 1-line block ×4, first 2 shown]
	v_and_b32_e32 v0, 15, v0
	v_and_b32_e32 v5, 15, v5
	;; [unrolled: 1-line block ×11, first 2 shown]
	v_lshlrev_b32_e32 v5, 2, v5
	v_and_b32_e32 v4, 15, v4
	v_lshlrev_b32_e32 v0, 2, v0
	v_lshlrev_b32_e32 v6, 2, v6
	v_lshlrev_b32_e32 v7, 2, v7
	v_lshlrev_b32_e32 v9, 2, v9
	v_lshlrev_b32_e32 v8, 2, v8
	v_lshlrev_b32_e32 v13, 2, v13
	v_lshlrev_b32_e32 v4, 2, v4
	ds_load_b32 v49, v5
	ds_load_b32 v50, v0
	;; [unrolled: 1-line block ×8, first 2 shown]
	v_subrev_nc_u32_e32 v0, 24, v40
	s_mov_b32 s50, 0
	s_mov_b32 s49, exec_lo
                                        ; implicit-def: $vgpr4
                                        ; implicit-def: $vgpr16
                                        ; implicit-def: $vgpr8_vgpr9
                                        ; implicit-def: $sgpr2
	s_delay_alu instid0(VALU_DEP_1)
	v_cmp_gt_i32_e64 s1, s12, v0
	v_cmpx_le_i32_e64 s12, v0
	s_xor_b32 s49, exec_lo, s49
	s_cbranch_execnz .LBB30_43
; %bb.12:                               ;   in Loop: Header=BB30_5 Depth=1
	s_or_saveexec_b32 s49, s49
	v_lshrrev_b32_e32 v29, 2, v36
	s_xor_b32 exec_lo, exec_lo, s49
	s_cbranch_execnz .LBB30_58
.LBB30_13:                              ;   in Loop: Header=BB30_5 Depth=1
	s_or_b32 exec_lo, exec_lo, s49
	v_mov_b32_e32 v51, s2
	s_and_saveexec_b32 s0, s50
	s_cbranch_execz .LBB30_15
.LBB30_14:                              ;   in Loop: Header=BB30_5 Depth=1
	global_load_b32 v51, v[8:9], off
.LBB30_15:                              ;   in Loop: Header=BB30_5 Depth=1
	s_or_b32 exec_lo, exec_lo, s0
	v_lshrrev_b16 v0, 4, v1
	v_lshrrev_b16 v8, 4, v10
	;; [unrolled: 1-line block ×4, first 2 shown]
	v_and_b32_e32 v1, 15, v1
	v_and_b32_e32 v0, 15, v0
	;; [unrolled: 1-line block ×11, first 2 shown]
	v_lshlrev_b32_e32 v0, 2, v0
	v_and_b32_e32 v11, 15, v11
	v_lshlrev_b32_e32 v1, 2, v1
	v_lshlrev_b32_e32 v8, 2, v8
	;; [unrolled: 1-line block ×7, first 2 shown]
	ds_load_b32 v59, v0
	ds_load_b32 v58, v1
	;; [unrolled: 1-line block ×8, first 2 shown]
	v_add_nc_u32_e32 v0, -16, v40
	s_mov_b32 s50, 0
                                        ; implicit-def: $vgpr8
                                        ; implicit-def: $vgpr19
                                        ; implicit-def: $sgpr49
	s_delay_alu instid0(VALU_DEP_1) | instskip(SKIP_1) | instid1(VALU_DEP_1)
	v_cmp_gt_i32_e64 s0, s12, v0
	v_cmp_le_i32_e64 s2, s12, v0
                                        ; implicit-def: $vgpr0_vgpr1
	s_and_saveexec_b32 s51, s2
	s_delay_alu instid0(SALU_CYCLE_1)
	s_xor_b32 s2, exec_lo, s51
	s_cbranch_execnz .LBB30_59
; %bb.16:                               ;   in Loop: Header=BB30_5 Depth=1
	s_and_not1_saveexec_b32 s2, s2
	s_cbranch_execnz .LBB30_76
.LBB30_17:                              ;   in Loop: Header=BB30_5 Depth=1
	s_or_b32 exec_lo, exec_lo, s2
	v_mov_b32_e32 v60, s49
	s_and_saveexec_b32 s1, s50
	s_cbranch_execz .LBB30_19
.LBB30_18:                              ;   in Loop: Header=BB30_5 Depth=1
	global_load_b32 v60, v[0:1], off
.LBB30_19:                              ;   in Loop: Header=BB30_5 Depth=1
	s_or_b32 exec_lo, exec_lo, s1
	v_lshrrev_b16 v0, 4, v2
	v_lshrrev_b16 v1, 4, v14
	;; [unrolled: 1-line block ×4, first 2 shown]
	v_and_b32_e32 v2, 15, v2
	v_and_b32_e32 v0, 15, v0
	;; [unrolled: 1-line block ×11, first 2 shown]
	v_lshlrev_b32_e32 v0, 2, v0
	v_and_b32_e32 v12, 15, v12
	v_lshlrev_b32_e32 v2, 2, v2
	v_lshlrev_b32_e32 v1, 2, v1
	;; [unrolled: 1-line block ×7, first 2 shown]
	ds_load_b32 v68, v0
	ds_load_b32 v67, v2
	;; [unrolled: 1-line block ×8, first 2 shown]
	v_add_nc_u32_e32 v0, -8, v40
	s_mov_b32 s50, 0
                                        ; implicit-def: $vgpr12
                                        ; implicit-def: $vgpr22
                                        ; implicit-def: $sgpr49
	s_delay_alu instid0(VALU_DEP_1) | instskip(SKIP_1) | instid1(VALU_DEP_1)
	v_cmp_gt_i32_e64 s1, s12, v0
	v_cmp_le_i32_e64 s2, s12, v0
                                        ; implicit-def: $vgpr0_vgpr1
	s_and_saveexec_b32 s51, s2
	s_delay_alu instid0(SALU_CYCLE_1)
	s_xor_b32 s2, exec_lo, s51
	s_cbranch_execnz .LBB30_77
; %bb.20:                               ;   in Loop: Header=BB30_5 Depth=1
	s_and_not1_saveexec_b32 s2, s2
	s_cbranch_execnz .LBB30_94
.LBB30_21:                              ;   in Loop: Header=BB30_5 Depth=1
	s_or_b32 exec_lo, exec_lo, s2
	v_mov_b32_e32 v69, s49
	s_and_saveexec_b32 s0, s50
	s_cbranch_execz .LBB30_23
.LBB30_22:                              ;   in Loop: Header=BB30_5 Depth=1
	global_load_b32 v69, v[0:1], off
.LBB30_23:                              ;   in Loop: Header=BB30_5 Depth=1
	s_or_b32 exec_lo, exec_lo, s0
	v_lshrrev_b16 v0, 4, v3
	v_lshrrev_b16 v1, 4, v25
	v_and_b32_e32 v2, 15, v3
	v_lshrrev_b16 v3, 4, v26
	v_lshrrev_b16 v33, 4, v27
	v_and_b32_e32 v0, 15, v0
	v_and_b32_e32 v1, 15, v1
	;; [unrolled: 1-line block ×10, first 2 shown]
	v_lshlrev_b32_e32 v0, 2, v0
	v_and_b32_e32 v27, 15, v27
	v_lshlrev_b32_e32 v2, 2, v2
	v_lshlrev_b32_e32 v1, 2, v1
	;; [unrolled: 1-line block ×7, first 2 shown]
	ds_load_b32 v77, v0
	ds_load_b32 v76, v2
	;; [unrolled: 1-line block ×8, first 2 shown]
	s_mov_b32 s2, 0
	s_mov_b32 s49, exec_lo
                                        ; implicit-def: $vgpr0
                                        ; implicit-def: $vgpr25
                                        ; implicit-def: $sgpr50
	v_cmpx_le_i32_e64 s12, v40
	s_xor_b32 s49, exec_lo, s49
	s_cbranch_execz .LBB30_39
; %bb.24:                               ;   in Loop: Header=BB30_5 Depth=1
	v_dual_mov_b32 v1, 0 :: v_dual_mov_b32 v0, 0
	s_and_saveexec_b32 s0, s1
	s_cbranch_execz .LBB30_26
; %bb.25:                               ;   in Loop: Header=BB30_5 Depth=1
	global_load_b32 v0, v[31:32], off offset:-28
.LBB30_26:                              ;   in Loop: Header=BB30_5 Depth=1
	s_or_b32 exec_lo, exec_lo, s0
	v_add_nc_u32_e32 v2, -7, v40
	s_mov_b32 s1, exec_lo
	s_delay_alu instid0(VALU_DEP_1)
	v_cmpx_gt_i32_e64 s12, v2
	s_cbranch_execz .LBB30_28
; %bb.27:                               ;   in Loop: Header=BB30_5 Depth=1
	global_load_b32 v1, v[31:32], off offset:-24
.LBB30_28:                              ;   in Loop: Header=BB30_5 Depth=1
	s_or_b32 exec_lo, exec_lo, s1
	v_dual_mov_b32 v3, 0 :: v_dual_add_nc_u32 v2, -6, v40
	s_delay_alu instid0(VALU_DEP_1) | instskip(SKIP_1) | instid1(VALU_DEP_2)
	v_cmp_gt_i32_e64 s0, s12, v2
	v_mov_b32_e32 v2, 0
	s_and_saveexec_b32 s1, s0
	s_cbranch_execz .LBB30_30
; %bb.29:                               ;   in Loop: Header=BB30_5 Depth=1
	global_load_b32 v2, v[31:32], off offset:-20
.LBB30_30:                              ;   in Loop: Header=BB30_5 Depth=1
	s_or_b32 exec_lo, exec_lo, s1
	v_add_nc_u32_e32 v25, -5, v40
	s_mov_b32 s1, exec_lo
	s_delay_alu instid0(VALU_DEP_1)
	v_cmpx_gt_i32_e64 s12, v25
	s_cbranch_execz .LBB30_32
; %bb.31:                               ;   in Loop: Header=BB30_5 Depth=1
	global_load_b32 v3, v[31:32], off offset:-16
.LBB30_32:                              ;   in Loop: Header=BB30_5 Depth=1
	s_or_b32 exec_lo, exec_lo, s1
	v_dual_mov_b32 v26, 0 :: v_dual_add_nc_u32 v25, -4, v40
	s_delay_alu instid0(VALU_DEP_1) | instskip(SKIP_1) | instid1(VALU_DEP_2)
	v_cmp_gt_i32_e64 s0, s12, v25
	v_mov_b32_e32 v25, 0
	s_and_saveexec_b32 s1, s0
	s_cbranch_execz .LBB30_34
; %bb.33:                               ;   in Loop: Header=BB30_5 Depth=1
	global_load_b32 v25, v[31:32], off offset:-12
.LBB30_34:                              ;   in Loop: Header=BB30_5 Depth=1
	s_or_b32 exec_lo, exec_lo, s1
	v_add_nc_u32_e32 v27, -3, v40
	s_mov_b32 s1, exec_lo
	s_delay_alu instid0(VALU_DEP_1)
	v_cmpx_gt_i32_e64 s12, v27
	s_cbranch_execz .LBB30_36
; %bb.35:                               ;   in Loop: Header=BB30_5 Depth=1
	global_load_b32 v26, v[31:32], off offset:-8
.LBB30_36:                              ;   in Loop: Header=BB30_5 Depth=1
	s_or_b32 exec_lo, exec_lo, s1
	v_add_nc_u32_e32 v27, -2, v40
	s_delay_alu instid0(VALU_DEP_1) | instskip(SKIP_1) | instid1(VALU_DEP_2)
	v_cmp_gt_i32_e64 s0, s12, v27
	v_mov_b32_e32 v27, 0
	s_and_saveexec_b32 s1, s0
	s_cbranch_execz .LBB30_38
; %bb.37:                               ;   in Loop: Header=BB30_5 Depth=1
	global_load_b32 v27, v[31:32], off offset:-4
.LBB30_38:                              ;   in Loop: Header=BB30_5 Depth=1
	s_or_b32 exec_lo, exec_lo, s1
	v_add_nc_u32_e32 v29, -1, v40
	s_mov_b32 s50, 0
	s_delay_alu instid0(VALU_DEP_1) | instskip(NEXT) | instid1(VALU_DEP_1)
	v_cmp_gt_i32_e64 s0, s12, v29
	s_and_b32 s2, s0, exec_lo
.LBB30_39:                              ;   in Loop: Header=BB30_5 Depth=1
	s_or_saveexec_b32 s1, s49
	v_dual_mov_b32 v34, v32 :: v_dual_mov_b32 v33, v31
	s_xor_b32 exec_lo, exec_lo, s1
; %bb.40:                               ;   in Loop: Header=BB30_5 Depth=1
	s_clause 0x1
	global_load_b128 v[0:3], v[31:32], off offset:-28
	global_load_b96 v[25:27], v[31:32], off offset:-12
	v_lshlrev_b64 v[33:34], 4, v[29:30]
	s_or_b32 s2, s2, exec_lo
	s_delay_alu instid0(VALU_DEP_1) | instskip(NEXT) | instid1(VALU_DEP_1)
	v_add_co_u32 v29, s0, s8, v33
	v_add_co_ci_u32_e64 v34, s0, s9, v34, s0
	s_delay_alu instid0(VALU_DEP_2) | instskip(NEXT) | instid1(VALU_DEP_1)
	v_add_co_u32 v33, s0, 0x7c, v29
	v_add_co_ci_u32_e64 v34, s0, 0, v34, s0
; %bb.41:                               ;   in Loop: Header=BB30_5 Depth=1
	s_or_b32 exec_lo, exec_lo, s1
	v_mov_b32_e32 v29, s50
	s_and_saveexec_b32 s0, s2
	s_cbranch_execz .LBB30_4
; %bb.42:                               ;   in Loop: Header=BB30_5 Depth=1
	global_load_b32 v29, v[33:34], off
	s_branch .LBB30_4
.LBB30_43:                              ;   in Loop: Header=BB30_5 Depth=1
	global_load_b32 v4, v[31:32], off offset:-124
	v_subrev_nc_u32_e32 v0, 31, v40
	v_dual_mov_b32 v6, 0 :: v_dual_mov_b32 v5, 0
	s_mov_b32 s2, exec_lo
	s_delay_alu instid0(VALU_DEP_2)
	v_cmpx_gt_i32_e64 s12, v0
	s_cbranch_execz .LBB30_45
; %bb.44:                               ;   in Loop: Header=BB30_5 Depth=1
	global_load_b32 v5, v[31:32], off offset:-120
.LBB30_45:                              ;   in Loop: Header=BB30_5 Depth=1
	s_or_b32 exec_lo, exec_lo, s2
	v_subrev_nc_u32_e32 v0, 30, v40
	s_mov_b32 s2, exec_lo
	s_delay_alu instid0(VALU_DEP_1)
	v_cmpx_gt_i32_e64 s12, v0
	s_cbranch_execz .LBB30_47
; %bb.46:                               ;   in Loop: Header=BB30_5 Depth=1
	global_load_b32 v6, v[31:32], off offset:-116
.LBB30_47:                              ;   in Loop: Header=BB30_5 Depth=1
	s_or_b32 exec_lo, exec_lo, s2
	v_subrev_nc_u32_e32 v0, 29, v40
	v_dual_mov_b32 v16, 0 :: v_dual_mov_b32 v7, 0
	s_mov_b32 s2, exec_lo
	s_delay_alu instid0(VALU_DEP_2)
	v_cmpx_gt_i32_e64 s12, v0
	s_cbranch_execz .LBB30_49
; %bb.48:                               ;   in Loop: Header=BB30_5 Depth=1
	global_load_b32 v7, v[31:32], off offset:-112
.LBB30_49:                              ;   in Loop: Header=BB30_5 Depth=1
	s_or_b32 exec_lo, exec_lo, s2
	v_subrev_nc_u32_e32 v0, 28, v40
	s_mov_b32 s2, exec_lo
	s_delay_alu instid0(VALU_DEP_1)
	v_cmpx_gt_i32_e64 s12, v0
	s_cbranch_execz .LBB30_51
; %bb.50:                               ;   in Loop: Header=BB30_5 Depth=1
	global_load_b32 v16, v[31:32], off offset:-108
.LBB30_51:                              ;   in Loop: Header=BB30_5 Depth=1
	s_or_b32 exec_lo, exec_lo, s2
	;; [unrolled: 19-line block ×3, first 2 shown]
	v_subrev_nc_u32_e32 v0, 25, v40
	s_mov_b32 s2, 0
	s_mov_b32 s51, exec_lo
                                        ; implicit-def: $vgpr8_vgpr9
	s_delay_alu instid0(VALU_DEP_1)
	v_cmpx_gt_i32_e64 s12, v0
	s_xor_b32 s51, exec_lo, s51
; %bb.56:                               ;   in Loop: Header=BB30_5 Depth=1
	v_add_co_u32 v8, s0, 0xffffffa0, v31
	s_delay_alu instid0(VALU_DEP_1)
	v_add_co_ci_u32_e64 v9, s0, -1, v32, s0
	s_mov_b32 s50, exec_lo
; %bb.57:                               ;   in Loop: Header=BB30_5 Depth=1
	s_or_b32 exec_lo, exec_lo, s51
	s_delay_alu instid0(SALU_CYCLE_1)
	s_and_b32 s50, s50, exec_lo
	s_or_saveexec_b32 s49, s49
	v_lshrrev_b32_e32 v29, 2, v36
	s_xor_b32 exec_lo, exec_lo, s49
	s_cbranch_execz .LBB30_13
.LBB30_58:                              ;   in Loop: Header=BB30_5 Depth=1
	s_clause 0x1
	global_load_b128 v[4:7], v[31:32], off offset:-124
	global_load_b96 v[16:18], v[31:32], off offset:-108
	v_lshlrev_b64 v[8:9], 4, v[29:30]
	s_or_b32 s50, s50, exec_lo
	s_delay_alu instid0(VALU_DEP_1) | instskip(NEXT) | instid1(VALU_DEP_1)
	v_add_co_u32 v0, s0, s8, v8
	v_add_co_ci_u32_e64 v9, s0, s9, v9, s0
	s_delay_alu instid0(VALU_DEP_2) | instskip(NEXT) | instid1(VALU_DEP_1)
	v_add_co_u32 v8, s0, v0, 28
	v_add_co_ci_u32_e64 v9, s0, 0, v9, s0
	s_or_b32 exec_lo, exec_lo, s49
	v_mov_b32_e32 v51, s2
	s_and_saveexec_b32 s0, s50
	s_cbranch_execnz .LBB30_14
	s_branch .LBB30_15
.LBB30_59:                              ;   in Loop: Header=BB30_5 Depth=1
	v_dual_mov_b32 v9, 0 :: v_dual_mov_b32 v8, 0
	s_and_saveexec_b32 s49, s1
	s_cbranch_execz .LBB30_61
; %bb.60:                               ;   in Loop: Header=BB30_5 Depth=1
	global_load_b32 v8, v[31:32], off offset:-92
.LBB30_61:                              ;   in Loop: Header=BB30_5 Depth=1
	s_or_b32 exec_lo, exec_lo, s49
	v_subrev_nc_u32_e32 v0, 23, v40
	s_mov_b32 s49, exec_lo
	s_delay_alu instid0(VALU_DEP_1)
	v_cmpx_gt_i32_e64 s12, v0
	s_cbranch_execz .LBB30_63
; %bb.62:                               ;   in Loop: Header=BB30_5 Depth=1
	global_load_b32 v9, v[31:32], off offset:-88
.LBB30_63:                              ;   in Loop: Header=BB30_5 Depth=1
	s_or_b32 exec_lo, exec_lo, s49
	v_subrev_nc_u32_e32 v0, 22, v40
	v_dual_mov_b32 v11, 0 :: v_dual_mov_b32 v10, 0
	s_mov_b32 s49, exec_lo
	s_delay_alu instid0(VALU_DEP_2)
	v_cmpx_gt_i32_e64 s12, v0
	s_cbranch_execz .LBB30_65
; %bb.64:                               ;   in Loop: Header=BB30_5 Depth=1
	global_load_b32 v10, v[31:32], off offset:-84
.LBB30_65:                              ;   in Loop: Header=BB30_5 Depth=1
	s_or_b32 exec_lo, exec_lo, s49
	v_subrev_nc_u32_e32 v0, 21, v40
	s_mov_b32 s49, exec_lo
	s_delay_alu instid0(VALU_DEP_1)
	v_cmpx_gt_i32_e64 s12, v0
	s_cbranch_execz .LBB30_67
; %bb.66:                               ;   in Loop: Header=BB30_5 Depth=1
	global_load_b32 v11, v[31:32], off offset:-80
.LBB30_67:                              ;   in Loop: Header=BB30_5 Depth=1
	s_or_b32 exec_lo, exec_lo, s49
	v_subrev_nc_u32_e32 v0, 20, v40
	v_dual_mov_b32 v20, 0 :: v_dual_mov_b32 v19, 0
	s_mov_b32 s49, exec_lo
	s_delay_alu instid0(VALU_DEP_2)
	v_cmpx_gt_i32_e64 s12, v0
	s_cbranch_execz .LBB30_69
; %bb.68:                               ;   in Loop: Header=BB30_5 Depth=1
	global_load_b32 v19, v[31:32], off offset:-76
.LBB30_69:                              ;   in Loop: Header=BB30_5 Depth=1
	s_or_b32 exec_lo, exec_lo, s49
	v_subrev_nc_u32_e32 v0, 19, v40
	s_mov_b32 s49, exec_lo
	s_delay_alu instid0(VALU_DEP_1)
	v_cmpx_gt_i32_e64 s12, v0
	s_cbranch_execz .LBB30_71
; %bb.70:                               ;   in Loop: Header=BB30_5 Depth=1
	global_load_b32 v20, v[31:32], off offset:-72
.LBB30_71:                              ;   in Loop: Header=BB30_5 Depth=1
	s_or_b32 exec_lo, exec_lo, s49
	v_subrev_nc_u32_e32 v0, 18, v40
	v_mov_b32_e32 v21, 0
	s_mov_b32 s49, exec_lo
	s_delay_alu instid0(VALU_DEP_2)
	v_cmpx_gt_i32_e64 s12, v0
	s_cbranch_execz .LBB30_73
; %bb.72:                               ;   in Loop: Header=BB30_5 Depth=1
	global_load_b32 v21, v[31:32], off offset:-68
.LBB30_73:                              ;   in Loop: Header=BB30_5 Depth=1
	s_or_b32 exec_lo, exec_lo, s49
	v_subrev_nc_u32_e32 v0, 17, v40
	s_mov_b32 s49, 0
	s_delay_alu instid0(VALU_DEP_1) | instskip(NEXT) | instid1(VALU_DEP_1)
	v_cmp_gt_i32_e64 s1, s12, v0
                                        ; implicit-def: $vgpr0_vgpr1
	s_and_saveexec_b32 s51, s1
; %bb.74:                               ;   in Loop: Header=BB30_5 Depth=1
	v_add_co_u32 v0, s1, 0xffffffc0, v31
	s_delay_alu instid0(VALU_DEP_1)
	v_add_co_ci_u32_e64 v1, s1, -1, v32, s1
	s_mov_b32 s50, exec_lo
; %bb.75:                               ;   in Loop: Header=BB30_5 Depth=1
	s_or_b32 exec_lo, exec_lo, s51
	s_delay_alu instid0(SALU_CYCLE_1)
	s_and_b32 s50, s50, exec_lo
	s_and_not1_saveexec_b32 s2, s2
	s_cbranch_execz .LBB30_17
.LBB30_76:                              ;   in Loop: Header=BB30_5 Depth=1
	s_clause 0x1
	global_load_b128 v[8:11], v[31:32], off offset:-92
	global_load_b96 v[19:21], v[31:32], off offset:-76
	v_lshlrev_b64 v[0:1], 4, v[29:30]
	s_or_b32 s50, s50, exec_lo
	s_delay_alu instid0(VALU_DEP_1) | instskip(NEXT) | instid1(VALU_DEP_1)
	v_add_co_u32 v0, s1, s8, v0
	v_add_co_ci_u32_e64 v1, s1, s9, v1, s1
	s_delay_alu instid0(VALU_DEP_2) | instskip(NEXT) | instid1(VALU_DEP_1)
	v_add_co_u32 v0, s1, v0, 60
	v_add_co_ci_u32_e64 v1, s1, 0, v1, s1
	s_or_b32 exec_lo, exec_lo, s2
	v_mov_b32_e32 v60, s49
	s_and_saveexec_b32 s1, s50
	s_cbranch_execnz .LBB30_18
	s_branch .LBB30_19
.LBB30_77:                              ;   in Loop: Header=BB30_5 Depth=1
	v_dual_mov_b32 v13, 0 :: v_dual_mov_b32 v12, 0
	s_and_saveexec_b32 s49, s0
	s_cbranch_execz .LBB30_79
; %bb.78:                               ;   in Loop: Header=BB30_5 Depth=1
	global_load_b32 v12, v[31:32], off offset:-60
.LBB30_79:                              ;   in Loop: Header=BB30_5 Depth=1
	s_or_b32 exec_lo, exec_lo, s49
	v_add_nc_u32_e32 v0, -15, v40
	s_mov_b32 s49, exec_lo
	s_delay_alu instid0(VALU_DEP_1)
	v_cmpx_gt_i32_e64 s12, v0
	s_cbranch_execz .LBB30_81
; %bb.80:                               ;   in Loop: Header=BB30_5 Depth=1
	global_load_b32 v13, v[31:32], off offset:-56
.LBB30_81:                              ;   in Loop: Header=BB30_5 Depth=1
	s_or_b32 exec_lo, exec_lo, s49
	v_dual_mov_b32 v15, 0 :: v_dual_add_nc_u32 v0, -14, v40
	v_mov_b32_e32 v14, 0
	s_mov_b32 s49, exec_lo
	s_delay_alu instid0(VALU_DEP_2)
	v_cmpx_gt_i32_e64 s12, v0
	s_cbranch_execz .LBB30_83
; %bb.82:                               ;   in Loop: Header=BB30_5 Depth=1
	global_load_b32 v14, v[31:32], off offset:-52
.LBB30_83:                              ;   in Loop: Header=BB30_5 Depth=1
	s_or_b32 exec_lo, exec_lo, s49
	v_add_nc_u32_e32 v0, -13, v40
	s_mov_b32 s49, exec_lo
	s_delay_alu instid0(VALU_DEP_1)
	v_cmpx_gt_i32_e64 s12, v0
	s_cbranch_execz .LBB30_85
; %bb.84:                               ;   in Loop: Header=BB30_5 Depth=1
	global_load_b32 v15, v[31:32], off offset:-48
.LBB30_85:                              ;   in Loop: Header=BB30_5 Depth=1
	s_or_b32 exec_lo, exec_lo, s49
	v_dual_mov_b32 v23, 0 :: v_dual_add_nc_u32 v0, -12, v40
	v_mov_b32_e32 v22, 0
	s_mov_b32 s49, exec_lo
	s_delay_alu instid0(VALU_DEP_2)
	v_cmpx_gt_i32_e64 s12, v0
	s_cbranch_execz .LBB30_87
; %bb.86:                               ;   in Loop: Header=BB30_5 Depth=1
	global_load_b32 v22, v[31:32], off offset:-44
.LBB30_87:                              ;   in Loop: Header=BB30_5 Depth=1
	s_or_b32 exec_lo, exec_lo, s49
	v_add_nc_u32_e32 v0, -11, v40
	s_mov_b32 s49, exec_lo
	s_delay_alu instid0(VALU_DEP_1)
	v_cmpx_gt_i32_e64 s12, v0
	s_cbranch_execz .LBB30_89
; %bb.88:                               ;   in Loop: Header=BB30_5 Depth=1
	global_load_b32 v23, v[31:32], off offset:-40
.LBB30_89:                              ;   in Loop: Header=BB30_5 Depth=1
	s_or_b32 exec_lo, exec_lo, s49
	v_add_nc_u32_e32 v0, -10, v40
	v_mov_b32_e32 v24, 0
	s_mov_b32 s49, exec_lo
	s_delay_alu instid0(VALU_DEP_2)
	v_cmpx_gt_i32_e64 s12, v0
	s_cbranch_execz .LBB30_91
; %bb.90:                               ;   in Loop: Header=BB30_5 Depth=1
	global_load_b32 v24, v[31:32], off offset:-36
.LBB30_91:                              ;   in Loop: Header=BB30_5 Depth=1
	s_or_b32 exec_lo, exec_lo, s49
	v_add_nc_u32_e32 v0, -9, v40
	s_mov_b32 s49, 0
	s_delay_alu instid0(VALU_DEP_1) | instskip(NEXT) | instid1(VALU_DEP_1)
	v_cmp_gt_i32_e64 s0, s12, v0
                                        ; implicit-def: $vgpr0_vgpr1
	s_and_saveexec_b32 s51, s0
; %bb.92:                               ;   in Loop: Header=BB30_5 Depth=1
	v_add_co_u32 v0, s0, 0xffffffe0, v31
	s_delay_alu instid0(VALU_DEP_1)
	v_add_co_ci_u32_e64 v1, s0, -1, v32, s0
	s_mov_b32 s50, exec_lo
; %bb.93:                               ;   in Loop: Header=BB30_5 Depth=1
	s_or_b32 exec_lo, exec_lo, s51
	s_delay_alu instid0(SALU_CYCLE_1)
	s_and_b32 s50, s50, exec_lo
	s_and_not1_saveexec_b32 s2, s2
	s_cbranch_execz .LBB30_21
.LBB30_94:                              ;   in Loop: Header=BB30_5 Depth=1
	s_clause 0x1
	global_load_b128 v[12:15], v[31:32], off offset:-60
	global_load_b96 v[22:24], v[31:32], off offset:-44
	v_lshlrev_b64 v[0:1], 4, v[29:30]
	s_or_b32 s50, s50, exec_lo
	s_delay_alu instid0(VALU_DEP_1) | instskip(NEXT) | instid1(VALU_DEP_1)
	v_add_co_u32 v0, s0, s8, v0
	v_add_co_ci_u32_e64 v1, s0, s9, v1, s0
	s_delay_alu instid0(VALU_DEP_2) | instskip(NEXT) | instid1(VALU_DEP_1)
	v_add_co_u32 v0, s0, 0x5c, v0
	v_add_co_ci_u32_e64 v1, s0, 0, v1, s0
	s_or_b32 exec_lo, exec_lo, s2
	v_mov_b32_e32 v69, s49
	s_and_saveexec_b32 s0, s50
	s_cbranch_execnz .LBB30_22
	s_branch .LBB30_23
.LBB30_95:                              ;   in Loop: Header=BB30_5 Depth=1
	v_dual_mov_b32 v7, 0x77 :: v_dual_mov_b32 v0, 0x77
	s_mov_b32 s49, exec_lo
	v_cmpx_gt_u32_e64 s14, v38
	s_cbranch_execz .LBB30_97
; %bb.96:                               ;   in Loop: Header=BB30_5 Depth=1
	v_add_co_u32 v0, s0, s4, v9
	s_delay_alu instid0(VALU_DEP_1)
	v_add_co_ci_u32_e64 v1, s0, s5, v13, s0
	global_load_u8 v0, v[0:1], off
.LBB30_97:                              ;   in Loop: Header=BB30_5 Depth=1
	s_or_b32 exec_lo, exec_lo, s49
	v_add_nc_u32_e32 v1, 1, v38
	s_mov_b32 s49, exec_lo
	s_delay_alu instid0(VALU_DEP_1)
	v_cmpx_gt_u32_e64 s14, v1
	s_cbranch_execz .LBB30_99
; %bb.98:                               ;   in Loop: Header=BB30_5 Depth=1
	v_add_co_u32 v1, s0, s17, v9
	s_delay_alu instid0(VALU_DEP_1)
	v_add_co_ci_u32_e64 v2, s0, s18, v13, s0
	global_load_u8 v7, v[1:2], off
.LBB30_99:                              ;   in Loop: Header=BB30_5 Depth=1
	s_or_b32 exec_lo, exec_lo, s49
	v_dual_mov_b32 v4, 0x77 :: v_dual_add_nc_u32 v1, 2, v38
	v_mov_b32_e32 v8, 0x77
	s_mov_b32 s49, exec_lo
	s_delay_alu instid0(VALU_DEP_2)
	v_cmpx_gt_u32_e64 s14, v1
	s_cbranch_execz .LBB30_101
; %bb.100:                              ;   in Loop: Header=BB30_5 Depth=1
	v_add_co_u32 v1, s0, s19, v9
	s_delay_alu instid0(VALU_DEP_1)
	v_add_co_ci_u32_e64 v2, s0, s20, v13, s0
	global_load_u8 v8, v[1:2], off
.LBB30_101:                             ;   in Loop: Header=BB30_5 Depth=1
	s_or_b32 exec_lo, exec_lo, s49
	v_add_nc_u32_e32 v1, 3, v38
	s_mov_b32 s49, exec_lo
	s_delay_alu instid0(VALU_DEP_1)
	v_cmpx_gt_u32_e64 s14, v1
	s_cbranch_execz .LBB30_103
; %bb.102:                              ;   in Loop: Header=BB30_5 Depth=1
	v_add_co_u32 v1, s0, s21, v9
	s_delay_alu instid0(VALU_DEP_1)
	v_add_co_ci_u32_e64 v2, s0, s22, v13, s0
	global_load_u8 v4, v[1:2], off
.LBB30_103:                             ;   in Loop: Header=BB30_5 Depth=1
	s_or_b32 exec_lo, exec_lo, s49
	v_dual_mov_b32 v10, 0x77 :: v_dual_add_nc_u32 v1, 4, v38
	s_delay_alu instid0(VALU_DEP_1) | instskip(SKIP_1) | instid1(VALU_DEP_2)
	v_cmp_gt_u32_e64 s0, s14, v1
	v_mov_b32_e32 v1, 0x77
	s_and_saveexec_b32 s49, s0
	s_cbranch_execz .LBB30_105
; %bb.104:                              ;   in Loop: Header=BB30_5 Depth=1
	v_add_co_u32 v1, s0, s23, v9
	s_delay_alu instid0(VALU_DEP_1)
	v_add_co_ci_u32_e64 v2, s0, s24, v13, s0
	global_load_u8 v1, v[1:2], off
.LBB30_105:                             ;   in Loop: Header=BB30_5 Depth=1
	s_or_b32 exec_lo, exec_lo, s49
	v_add_nc_u32_e32 v2, 5, v38
	s_mov_b32 s49, exec_lo
	s_delay_alu instid0(VALU_DEP_1)
	v_cmpx_gt_u32_e64 s14, v2
	s_cbranch_execz .LBB30_107
; %bb.106:                              ;   in Loop: Header=BB30_5 Depth=1
	v_add_co_u32 v2, s0, s25, v9
	s_delay_alu instid0(VALU_DEP_1)
	v_add_co_ci_u32_e64 v3, s0, s26, v13, s0
	global_load_u8 v10, v[2:3], off
.LBB30_107:                             ;   in Loop: Header=BB30_5 Depth=1
	s_or_b32 exec_lo, exec_lo, s49
	v_dual_mov_b32 v11, 0x77 :: v_dual_add_nc_u32 v2, 6, v38
	v_mov_b32_e32 v19, 0x77
	s_mov_b32 s49, exec_lo
	s_delay_alu instid0(VALU_DEP_2)
	v_cmpx_gt_u32_e64 s14, v2
	s_cbranch_execz .LBB30_109
; %bb.108:                              ;   in Loop: Header=BB30_5 Depth=1
	v_add_co_u32 v2, s0, s27, v9
	s_delay_alu instid0(VALU_DEP_1)
	v_add_co_ci_u32_e64 v3, s0, s28, v13, s0
	global_load_u8 v19, v[2:3], off
.LBB30_109:                             ;   in Loop: Header=BB30_5 Depth=1
	s_or_b32 exec_lo, exec_lo, s49
	v_add_nc_u32_e32 v2, 7, v38
	s_mov_b32 s49, exec_lo
	s_delay_alu instid0(VALU_DEP_1)
	v_cmpx_gt_u32_e64 s14, v2
	s_cbranch_execz .LBB30_111
; %bb.110:                              ;   in Loop: Header=BB30_5 Depth=1
	v_add_co_u32 v2, s0, s29, v9
	s_delay_alu instid0(VALU_DEP_1)
	v_add_co_ci_u32_e64 v3, s0, s30, v13, s0
	global_load_u8 v11, v[2:3], off
.LBB30_111:                             ;   in Loop: Header=BB30_5 Depth=1
	s_or_b32 exec_lo, exec_lo, s49
	v_add_nc_u32_e32 v2, 8, v38
	v_mov_b32_e32 v14, 0x77
	s_delay_alu instid0(VALU_DEP_2) | instskip(SKIP_1) | instid1(VALU_DEP_2)
	v_cmp_gt_u32_e64 s0, s14, v2
	v_mov_b32_e32 v2, 0x77
	s_and_saveexec_b32 s49, s0
	s_cbranch_execz .LBB30_113
; %bb.112:                              ;   in Loop: Header=BB30_5 Depth=1
	v_add_co_u32 v2, s0, s31, v9
	s_delay_alu instid0(VALU_DEP_1)
	v_add_co_ci_u32_e64 v3, s0, s33, v13, s0
	global_load_u8 v2, v[2:3], off
.LBB30_113:                             ;   in Loop: Header=BB30_5 Depth=1
	s_or_b32 exec_lo, exec_lo, s49
	v_add_nc_u32_e32 v3, 9, v38
	s_mov_b32 s49, exec_lo
	s_delay_alu instid0(VALU_DEP_1)
	v_cmpx_gt_u32_e64 s14, v3
	s_cbranch_execz .LBB30_115
; %bb.114:                              ;   in Loop: Header=BB30_5 Depth=1
	v_add_co_u32 v5, s0, s34, v9
	s_delay_alu instid0(VALU_DEP_1)
	v_add_co_ci_u32_e64 v6, s0, s35, v13, s0
	global_load_u8 v14, v[5:6], off
.LBB30_115:                             ;   in Loop: Header=BB30_5 Depth=1
	s_or_b32 exec_lo, exec_lo, s49
	v_dual_mov_b32 v12, 0x77 :: v_dual_add_nc_u32 v3, 10, v38
	v_mov_b32_e32 v15, 0x77
	s_mov_b32 s49, exec_lo
	s_delay_alu instid0(VALU_DEP_2)
	v_cmpx_gt_u32_e64 s14, v3
	s_cbranch_execz .LBB30_117
; %bb.116:                              ;   in Loop: Header=BB30_5 Depth=1
	v_add_co_u32 v5, s0, s36, v9
	s_delay_alu instid0(VALU_DEP_1)
	v_add_co_ci_u32_e64 v6, s0, s37, v13, s0
	global_load_u8 v15, v[5:6], off
.LBB30_117:                             ;   in Loop: Header=BB30_5 Depth=1
	s_or_b32 exec_lo, exec_lo, s49
	v_add_nc_u32_e32 v3, 11, v38
	s_mov_b32 s49, exec_lo
	s_delay_alu instid0(VALU_DEP_1)
	v_cmpx_gt_u32_e64 s14, v3
	s_cbranch_execz .LBB30_119
; %bb.118:                              ;   in Loop: Header=BB30_5 Depth=1
	v_add_co_u32 v5, s0, s38, v9
	s_delay_alu instid0(VALU_DEP_1)
	v_add_co_ci_u32_e64 v6, s0, s39, v13, s0
	global_load_u8 v12, v[5:6], off
.LBB30_119:                             ;   in Loop: Header=BB30_5 Depth=1
	s_or_b32 exec_lo, exec_lo, s49
	v_add_nc_u32_e32 v3, 12, v38
	v_mov_b32_e32 v25, 0x77
	s_delay_alu instid0(VALU_DEP_2) | instskip(SKIP_1) | instid1(VALU_DEP_2)
	v_cmp_gt_u32_e64 s0, s14, v3
	v_mov_b32_e32 v3, 0x77
	s_and_saveexec_b32 s49, s0
	s_cbranch_execz .LBB30_121
; %bb.120:                              ;   in Loop: Header=BB30_5 Depth=1
	v_add_co_u32 v5, s0, s40, v9
	s_delay_alu instid0(VALU_DEP_1)
	v_add_co_ci_u32_e64 v6, s0, s41, v13, s0
	global_load_u8 v3, v[5:6], off
.LBB30_121:                             ;   in Loop: Header=BB30_5 Depth=1
	s_or_b32 exec_lo, exec_lo, s49
	v_add_nc_u32_e32 v5, 13, v38
	s_mov_b32 s49, exec_lo
	s_delay_alu instid0(VALU_DEP_1)
	v_cmpx_gt_u32_e64 s14, v5
	s_cbranch_execz .LBB30_123
; %bb.122:                              ;   in Loop: Header=BB30_5 Depth=1
	v_add_co_u32 v5, s0, s42, v9
	s_delay_alu instid0(VALU_DEP_1)
	v_add_co_ci_u32_e64 v6, s0, s43, v13, s0
	global_load_u8 v25, v[5:6], off
.LBB30_123:                             ;   in Loop: Header=BB30_5 Depth=1
	s_or_b32 exec_lo, exec_lo, s49
	v_dual_mov_b32 v26, 0x77 :: v_dual_add_nc_u32 v5, 14, v38
	s_mov_b32 s49, exec_lo
	s_delay_alu instid0(VALU_DEP_1)
	v_cmpx_gt_u32_e64 s14, v5
	s_cbranch_execz .LBB30_125
; %bb.124:                              ;   in Loop: Header=BB30_5 Depth=1
	v_add_co_u32 v5, s0, s44, v9
	s_delay_alu instid0(VALU_DEP_1)
	v_add_co_ci_u32_e64 v6, s0, s45, v13, s0
	global_load_u8 v26, v[5:6], off
.LBB30_125:                             ;   in Loop: Header=BB30_5 Depth=1
	s_or_b32 exec_lo, exec_lo, s49
	v_add_nc_u32_e32 v5, 15, v38
	s_mov_b32 s49, 0
	s_delay_alu instid0(VALU_DEP_1) | instskip(NEXT) | instid1(VALU_DEP_1)
	v_cmp_gt_u32_e64 s0, s14, v5
                                        ; implicit-def: $vgpr5_vgpr6
	s_and_saveexec_b32 s50, s0
	s_delay_alu instid0(SALU_CYCLE_1)
	s_xor_b32 s50, exec_lo, s50
; %bb.126:                              ;   in Loop: Header=BB30_5 Depth=1
	v_add_co_u32 v5, s0, s46, v9
	s_delay_alu instid0(VALU_DEP_1)
	v_add_co_ci_u32_e64 v6, s0, s48, v13, s0
	s_mov_b32 s49, exec_lo
; %bb.127:                              ;   in Loop: Header=BB30_5 Depth=1
	s_or_b32 exec_lo, exec_lo, s50
	s_movk_i32 s50, 0x77
	s_and_b32 s49, s49, exec_lo
                                        ; implicit-def: $vgpr13
                                        ; implicit-def: $vgpr9
	s_and_not1_saveexec_b32 s2, s2
	s_cbranch_execz .LBB30_8
.LBB30_128:                             ;   in Loop: Header=BB30_5 Depth=1
	s_waitcnt vmcnt(0)
	v_lshrrev_b32_e32 v0, 28, v13
	s_or_b32 s49, s49, exec_lo
	s_delay_alu instid0(VALU_DEP_1) | instskip(NEXT) | instid1(VALU_DEP_1)
	v_add_nc_u32_e32 v0, v9, v0
	v_ashrrev_i32_e32 v0, 4, v0
	s_delay_alu instid0(VALU_DEP_1) | instskip(NEXT) | instid1(VALU_DEP_1)
	v_ashrrev_i32_e32 v1, 31, v0
	v_lshlrev_b64 v[0:1], 4, v[0:1]
	s_delay_alu instid0(VALU_DEP_1) | instskip(NEXT) | instid1(VALU_DEP_1)
	v_add_co_u32 v16, s0, s4, v0
	v_add_co_ci_u32_e64 v17, s0, s5, v1, s0
	global_load_b128 v[0:3], v[16:17], off
	s_waitcnt vmcnt(0)
	v_lshrrev_b64 v[4:5], 24, v[0:1]
	v_add_co_u32 v5, s0, v16, 15
	v_lshrrev_b32_e32 v7, 8, v0
	v_lshrrev_b32_e32 v8, 16, v0
	;; [unrolled: 1-line block ×7, first 2 shown]
	v_lshrrev_b64 v[12:13], 24, v[2:3]
	v_lshrrev_b32_e32 v25, 8, v3
	v_lshrrev_b32_e32 v26, 16, v3
	v_add_co_ci_u32_e64 v6, s0, 0, v17, s0
	s_or_b32 exec_lo, exec_lo, s2
	v_mov_b32_e32 v27, s50
	s_and_saveexec_b32 s0, s49
	s_cbranch_execnz .LBB30_9
	s_branch .LBB30_10
.LBB30_129:
	s_or_b32 exec_lo, exec_lo, s47
.LBB30_130:
	s_delay_alu instid0(SALU_CYCLE_1) | instskip(SKIP_3) | instid1(VALU_DEP_3)
	s_or_b32 exec_lo, exec_lo, s13
	v_mov_b32_dpp v0, v37 quad_perm:[1,0,3,2] row_mask:0xf bank_mask:0xf
	v_cmp_gt_i32_e32 vcc_lo, s3, v28
	v_cmp_eq_u32_e64 s0, 0, v35
	v_add_f32_e32 v0, v37, v0
	s_delay_alu instid0(VALU_DEP_2) | instskip(NEXT) | instid1(VALU_DEP_1)
	s_and_b32 s0, s0, vcc_lo
	v_mov_b32_dpp v1, v0 quad_perm:[2,3,0,1] row_mask:0xf bank_mask:0xf
	s_delay_alu instid0(VALU_DEP_1) | instskip(NEXT) | instid1(VALU_DEP_1)
	v_add_f32_e32 v0, v0, v1
	v_mov_b32_dpp v1, v0 row_ror:4 row_mask:0xf bank_mask:0xf
	s_delay_alu instid0(VALU_DEP_1) | instskip(NEXT) | instid1(VALU_DEP_1)
	v_add_f32_e32 v0, v0, v1
	v_mov_b32_dpp v1, v0 row_ror:8 row_mask:0xf bank_mask:0xf
	s_delay_alu instid0(VALU_DEP_1)
	v_add_f32_e32 v0, v0, v1
	ds_swizzle_b32 v1, v0 offset:swizzle(BROADCAST,32,15)
	s_waitcnt lgkmcnt(0)
	v_dual_add_f32 v0, v0, v1 :: v_dual_mov_b32 v1, 0
	ds_bpermute_b32 v0, v1, v0 offset:124
	s_and_saveexec_b32 s1, s0
	s_cbranch_execz .LBB30_132
; %bb.131:
	v_ashrrev_i32_e32 v29, 31, v28
	s_delay_alu instid0(VALU_DEP_1) | instskip(NEXT) | instid1(VALU_DEP_1)
	v_lshlrev_b64 v[1:2], 2, v[28:29]
	v_add_co_u32 v1, vcc_lo, s10, v1
	s_delay_alu instid0(VALU_DEP_2)
	v_add_co_ci_u32_e32 v2, vcc_lo, s11, v2, vcc_lo
	s_waitcnt lgkmcnt(0)
	global_store_b32 v[1:2], v0, off
.LBB30_132:
	s_nop 0
	s_sendmsg sendmsg(MSG_DEALLOC_VGPRS)
	s_endpgm
	.section	.rodata,"a",@progbits
	.p2align	6, 0x0
	.amdhsa_kernel _Z26kgemm_4bit_inference_naiveIfLi128ELi32EEviiiPT_PhPfPKfS1_iiii
		.amdhsa_group_segment_fixed_size 64
		.amdhsa_private_segment_fixed_size 0
		.amdhsa_kernarg_size 72
		.amdhsa_user_sgpr_count 15
		.amdhsa_user_sgpr_dispatch_ptr 0
		.amdhsa_user_sgpr_queue_ptr 0
		.amdhsa_user_sgpr_kernarg_segment_ptr 1
		.amdhsa_user_sgpr_dispatch_id 0
		.amdhsa_user_sgpr_private_segment_size 0
		.amdhsa_wavefront_size32 1
		.amdhsa_uses_dynamic_stack 0
		.amdhsa_enable_private_segment 0
		.amdhsa_system_sgpr_workgroup_id_x 1
		.amdhsa_system_sgpr_workgroup_id_y 0
		.amdhsa_system_sgpr_workgroup_id_z 0
		.amdhsa_system_sgpr_workgroup_info 0
		.amdhsa_system_vgpr_workitem_id 0
		.amdhsa_next_free_vgpr 78
		.amdhsa_next_free_sgpr 52
		.amdhsa_reserve_vcc 1
		.amdhsa_float_round_mode_32 0
		.amdhsa_float_round_mode_16_64 0
		.amdhsa_float_denorm_mode_32 3
		.amdhsa_float_denorm_mode_16_64 3
		.amdhsa_dx10_clamp 1
		.amdhsa_ieee_mode 1
		.amdhsa_fp16_overflow 0
		.amdhsa_workgroup_processor_mode 1
		.amdhsa_memory_ordered 1
		.amdhsa_forward_progress 0
		.amdhsa_shared_vgpr_count 0
		.amdhsa_exception_fp_ieee_invalid_op 0
		.amdhsa_exception_fp_denorm_src 0
		.amdhsa_exception_fp_ieee_div_zero 0
		.amdhsa_exception_fp_ieee_overflow 0
		.amdhsa_exception_fp_ieee_underflow 0
		.amdhsa_exception_fp_ieee_inexact 0
		.amdhsa_exception_int_div_zero 0
	.end_amdhsa_kernel
	.section	.text._Z26kgemm_4bit_inference_naiveIfLi128ELi32EEviiiPT_PhPfPKfS1_iiii,"axG",@progbits,_Z26kgemm_4bit_inference_naiveIfLi128ELi32EEviiiPT_PhPfPKfS1_iiii,comdat
.Lfunc_end30:
	.size	_Z26kgemm_4bit_inference_naiveIfLi128ELi32EEviiiPT_PhPfPKfS1_iiii, .Lfunc_end30-_Z26kgemm_4bit_inference_naiveIfLi128ELi32EEviiiPT_PhPfPKfS1_iiii
                                        ; -- End function
	.section	.AMDGPU.csdata,"",@progbits
; Kernel info:
; codeLenInByte = 5260
; NumSgprs: 54
; NumVgprs: 78
; ScratchSize: 0
; MemoryBound: 0
; FloatMode: 240
; IeeeMode: 1
; LDSByteSize: 64 bytes/workgroup (compile time only)
; SGPRBlocks: 6
; VGPRBlocks: 9
; NumSGPRsForWavesPerEU: 54
; NumVGPRsForWavesPerEU: 78
; Occupancy: 16
; WaveLimiterHint : 0
; COMPUTE_PGM_RSRC2:SCRATCH_EN: 0
; COMPUTE_PGM_RSRC2:USER_SGPR: 15
; COMPUTE_PGM_RSRC2:TRAP_HANDLER: 0
; COMPUTE_PGM_RSRC2:TGID_X_EN: 1
; COMPUTE_PGM_RSRC2:TGID_Y_EN: 0
; COMPUTE_PGM_RSRC2:TGID_Z_EN: 0
; COMPUTE_PGM_RSRC2:TIDIG_COMP_CNT: 0
	.section	.text._Z27kspmm_coo_very_sparse_naiveI6__halfLi8ELi16EEvPiS1_S1_S1_S1_PS0_PT_S2_Pfiiii,"axG",@progbits,_Z27kspmm_coo_very_sparse_naiveI6__halfLi8ELi16EEvPiS1_S1_S1_S1_PS0_PT_S2_Pfiiii,comdat
